;; amdgpu-corpus repo=ROCm/rocFFT kind=compiled arch=gfx906 opt=O3
	.text
	.amdgcn_target "amdgcn-amd-amdhsa--gfx906"
	.amdhsa_code_object_version 6
	.protected	fft_rtc_fwd_len154_factors_11_7_2_wgs_110_tpt_22_half_op_CI_CI_unitstride_sbrr_C2R_dirReg ; -- Begin function fft_rtc_fwd_len154_factors_11_7_2_wgs_110_tpt_22_half_op_CI_CI_unitstride_sbrr_C2R_dirReg
	.globl	fft_rtc_fwd_len154_factors_11_7_2_wgs_110_tpt_22_half_op_CI_CI_unitstride_sbrr_C2R_dirReg
	.p2align	8
	.type	fft_rtc_fwd_len154_factors_11_7_2_wgs_110_tpt_22_half_op_CI_CI_unitstride_sbrr_C2R_dirReg,@function
fft_rtc_fwd_len154_factors_11_7_2_wgs_110_tpt_22_half_op_CI_CI_unitstride_sbrr_C2R_dirReg: ; @fft_rtc_fwd_len154_factors_11_7_2_wgs_110_tpt_22_half_op_CI_CI_unitstride_sbrr_C2R_dirReg
; %bb.0:
	v_mul_u32_u24_e32 v1, 0xba3, v0
	s_load_dwordx4 s[8:11], s[4:5], 0x58
	s_load_dwordx4 s[12:15], s[4:5], 0x0
	;; [unrolled: 1-line block ×3, first 2 shown]
	v_lshrrev_b32_e32 v1, 16, v1
	v_mad_u64_u32 v[8:9], s[0:1], s6, 5, v[1:2]
	v_mov_b32_e32 v10, 0
	s_waitcnt lgkmcnt(0)
	v_cmp_lt_u64_e64 s[0:1], s[14:15], 2
	v_mov_b32_e32 v6, 0
	v_mov_b32_e32 v9, v10
	;; [unrolled: 1-line block ×5, first 2 shown]
	s_and_b64 vcc, exec, s[0:1]
	v_mov_b32_e32 v2, v7
	v_mov_b32_e32 v4, v9
	s_cbranch_vccnz .LBB0_8
; %bb.1:
	s_load_dwordx2 s[0:1], s[4:5], 0x10
	s_add_u32 s2, s18, 8
	s_addc_u32 s3, s19, 0
	s_add_u32 s6, s16, 8
	s_addc_u32 s7, s17, 0
	v_mov_b32_e32 v6, 0
	s_waitcnt lgkmcnt(0)
	s_add_u32 s20, s0, 8
	v_mov_b32_e32 v7, 0
	v_mov_b32_e32 v1, v6
	;; [unrolled: 1-line block ×3, first 2 shown]
	s_addc_u32 s21, s1, 0
	s_mov_b64 s[22:23], 1
	v_mov_b32_e32 v2, v7
	v_mov_b32_e32 v12, v8
.LBB0_2:                                ; =>This Inner Loop Header: Depth=1
	s_load_dwordx2 s[24:25], s[20:21], 0x0
                                        ; implicit-def: $vgpr3_vgpr4
	s_waitcnt lgkmcnt(0)
	v_or_b32_e32 v11, s25, v13
	v_cmp_ne_u64_e32 vcc, 0, v[10:11]
	s_and_saveexec_b64 s[0:1], vcc
	s_xor_b64 s[26:27], exec, s[0:1]
	s_cbranch_execz .LBB0_4
; %bb.3:                                ;   in Loop: Header=BB0_2 Depth=1
	v_cvt_f32_u32_e32 v3, s24
	v_cvt_f32_u32_e32 v4, s25
	s_sub_u32 s0, 0, s24
	s_subb_u32 s1, 0, s25
	v_mac_f32_e32 v3, 0x4f800000, v4
	v_rcp_f32_e32 v3, v3
	v_mul_f32_e32 v3, 0x5f7ffffc, v3
	v_mul_f32_e32 v4, 0x2f800000, v3
	v_trunc_f32_e32 v4, v4
	v_mac_f32_e32 v3, 0xcf800000, v4
	v_cvt_u32_f32_e32 v4, v4
	v_cvt_u32_f32_e32 v3, v3
	v_mul_lo_u32 v5, s0, v4
	v_mul_hi_u32 v9, s0, v3
	v_mul_lo_u32 v14, s1, v3
	v_mul_lo_u32 v11, s0, v3
	v_add_u32_e32 v5, v9, v5
	v_add_u32_e32 v5, v5, v14
	v_mul_hi_u32 v9, v3, v11
	v_mul_lo_u32 v14, v3, v5
	v_mul_hi_u32 v16, v3, v5
	v_mul_hi_u32 v15, v4, v11
	v_mul_lo_u32 v11, v4, v11
	v_mul_hi_u32 v17, v4, v5
	v_add_co_u32_e32 v9, vcc, v9, v14
	v_addc_co_u32_e32 v14, vcc, 0, v16, vcc
	v_mul_lo_u32 v5, v4, v5
	v_add_co_u32_e32 v9, vcc, v9, v11
	v_addc_co_u32_e32 v9, vcc, v14, v15, vcc
	v_addc_co_u32_e32 v11, vcc, 0, v17, vcc
	v_add_co_u32_e32 v5, vcc, v9, v5
	v_addc_co_u32_e32 v9, vcc, 0, v11, vcc
	v_add_co_u32_e32 v3, vcc, v3, v5
	v_addc_co_u32_e32 v4, vcc, v4, v9, vcc
	v_mul_lo_u32 v5, s0, v4
	v_mul_hi_u32 v9, s0, v3
	v_mul_lo_u32 v11, s1, v3
	v_mul_lo_u32 v14, s0, v3
	v_add_u32_e32 v5, v9, v5
	v_add_u32_e32 v5, v5, v11
	v_mul_lo_u32 v15, v3, v5
	v_mul_hi_u32 v16, v3, v14
	v_mul_hi_u32 v17, v3, v5
	;; [unrolled: 1-line block ×3, first 2 shown]
	v_mul_lo_u32 v14, v4, v14
	v_mul_hi_u32 v9, v4, v5
	v_add_co_u32_e32 v15, vcc, v16, v15
	v_addc_co_u32_e32 v16, vcc, 0, v17, vcc
	v_mul_lo_u32 v5, v4, v5
	v_add_co_u32_e32 v14, vcc, v15, v14
	v_addc_co_u32_e32 v11, vcc, v16, v11, vcc
	v_addc_co_u32_e32 v9, vcc, 0, v9, vcc
	v_add_co_u32_e32 v5, vcc, v11, v5
	v_addc_co_u32_e32 v9, vcc, 0, v9, vcc
	v_add_co_u32_e32 v5, vcc, v3, v5
	v_addc_co_u32_e32 v9, vcc, v4, v9, vcc
	v_mad_u64_u32 v[3:4], s[0:1], v12, v9, 0
	v_mul_hi_u32 v11, v12, v5
	v_mad_u64_u32 v[14:15], s[0:1], v13, v9, 0
	v_add_co_u32_e32 v11, vcc, v11, v3
	v_addc_co_u32_e32 v16, vcc, 0, v4, vcc
	v_mad_u64_u32 v[3:4], s[0:1], v13, v5, 0
	v_add_co_u32_e32 v3, vcc, v11, v3
	v_addc_co_u32_e32 v3, vcc, v16, v4, vcc
	v_addc_co_u32_e32 v4, vcc, 0, v15, vcc
	v_add_co_u32_e32 v5, vcc, v3, v14
	v_addc_co_u32_e32 v9, vcc, 0, v4, vcc
	v_mul_lo_u32 v11, s25, v5
	v_mul_lo_u32 v14, s24, v9
	v_mad_u64_u32 v[3:4], s[0:1], s24, v5, 0
	v_add3_u32 v4, v4, v14, v11
	v_sub_u32_e32 v11, v13, v4
	v_mov_b32_e32 v14, s25
	v_sub_co_u32_e32 v3, vcc, v12, v3
	v_subb_co_u32_e64 v11, s[0:1], v11, v14, vcc
	v_subrev_co_u32_e64 v14, s[0:1], s24, v3
	v_subbrev_co_u32_e64 v11, s[0:1], 0, v11, s[0:1]
	v_cmp_le_u32_e64 s[0:1], s25, v11
	v_cndmask_b32_e64 v15, 0, -1, s[0:1]
	v_cmp_le_u32_e64 s[0:1], s24, v14
	v_cndmask_b32_e64 v14, 0, -1, s[0:1]
	v_cmp_eq_u32_e64 s[0:1], s25, v11
	v_cndmask_b32_e64 v11, v15, v14, s[0:1]
	v_add_co_u32_e64 v14, s[0:1], 2, v5
	v_addc_co_u32_e64 v15, s[0:1], 0, v9, s[0:1]
	v_add_co_u32_e64 v16, s[0:1], 1, v5
	v_addc_co_u32_e64 v17, s[0:1], 0, v9, s[0:1]
	v_subb_co_u32_e32 v4, vcc, v13, v4, vcc
	v_cmp_ne_u32_e64 s[0:1], 0, v11
	v_cmp_le_u32_e32 vcc, s25, v4
	v_cndmask_b32_e64 v11, v17, v15, s[0:1]
	v_cndmask_b32_e64 v15, 0, -1, vcc
	v_cmp_le_u32_e32 vcc, s24, v3
	v_cndmask_b32_e64 v3, 0, -1, vcc
	v_cmp_eq_u32_e32 vcc, s25, v4
	v_cndmask_b32_e32 v3, v15, v3, vcc
	v_cmp_ne_u32_e32 vcc, 0, v3
	v_cndmask_b32_e64 v3, v16, v14, s[0:1]
	v_cndmask_b32_e32 v4, v9, v11, vcc
	v_cndmask_b32_e32 v3, v5, v3, vcc
.LBB0_4:                                ;   in Loop: Header=BB0_2 Depth=1
	s_andn2_saveexec_b64 s[0:1], s[26:27]
	s_cbranch_execz .LBB0_6
; %bb.5:                                ;   in Loop: Header=BB0_2 Depth=1
	v_cvt_f32_u32_e32 v3, s24
	s_sub_i32 s26, 0, s24
	v_rcp_iflag_f32_e32 v3, v3
	v_mul_f32_e32 v3, 0x4f7ffffe, v3
	v_cvt_u32_f32_e32 v3, v3
	v_mul_lo_u32 v4, s26, v3
	v_mul_hi_u32 v4, v3, v4
	v_add_u32_e32 v3, v3, v4
	v_mul_hi_u32 v3, v12, v3
	v_mul_lo_u32 v4, v3, s24
	v_add_u32_e32 v5, 1, v3
	v_sub_u32_e32 v4, v12, v4
	v_subrev_u32_e32 v9, s24, v4
	v_cmp_le_u32_e32 vcc, s24, v4
	v_cndmask_b32_e32 v4, v4, v9, vcc
	v_cndmask_b32_e32 v3, v3, v5, vcc
	v_add_u32_e32 v5, 1, v3
	v_cmp_le_u32_e32 vcc, s24, v4
	v_cndmask_b32_e32 v3, v3, v5, vcc
	v_mov_b32_e32 v4, v10
.LBB0_6:                                ;   in Loop: Header=BB0_2 Depth=1
	s_or_b64 exec, exec, s[0:1]
	v_mul_lo_u32 v5, v4, s24
	v_mul_lo_u32 v9, v3, s25
	v_mad_u64_u32 v[14:15], s[0:1], v3, s24, 0
	s_load_dwordx2 s[0:1], s[6:7], 0x0
	s_load_dwordx2 s[24:25], s[2:3], 0x0
	v_add3_u32 v5, v15, v9, v5
	v_sub_co_u32_e32 v9, vcc, v12, v14
	v_subb_co_u32_e32 v5, vcc, v13, v5, vcc
	s_waitcnt lgkmcnt(0)
	v_mul_lo_u32 v11, s0, v5
	v_mul_lo_u32 v12, s1, v9
	v_mad_u64_u32 v[6:7], s[0:1], s0, v9, v[6:7]
	s_add_u32 s22, s22, 1
	s_addc_u32 s23, s23, 0
	s_add_u32 s2, s2, 8
	v_mul_lo_u32 v5, s24, v5
	v_mul_lo_u32 v13, s25, v9
	v_mad_u64_u32 v[1:2], s[0:1], s24, v9, v[1:2]
	v_add3_u32 v7, v12, v7, v11
	s_addc_u32 s3, s3, 0
	v_mov_b32_e32 v11, s14
	s_add_u32 s6, s6, 8
	v_mov_b32_e32 v12, s15
	s_addc_u32 s7, s7, 0
	v_cmp_ge_u64_e32 vcc, s[22:23], v[11:12]
	s_add_u32 s20, s20, 8
	v_add3_u32 v2, v13, v2, v5
	s_addc_u32 s21, s21, 0
	s_cbranch_vccnz .LBB0_8
; %bb.7:                                ;   in Loop: Header=BB0_2 Depth=1
	v_mov_b32_e32 v13, v4
	v_mov_b32_e32 v12, v3
	s_branch .LBB0_2
.LBB0_8:
	s_mov_b32 s2, 0xcccccccd
	s_load_dwordx2 s[0:1], s[4:5], 0x28
	v_mul_hi_u32 v5, v8, s2
	s_lshl_b64 s[6:7], s[14:15], 3
	s_add_u32 s4, s18, s6
	s_addc_u32 s5, s19, s7
	v_lshrrev_b32_e32 v5, 2, v5
	v_lshl_add_u32 v5, v5, 2, v5
	s_waitcnt lgkmcnt(0)
	v_cmp_gt_u64_e32 vcc, s[0:1], v[3:4]
	v_cmp_le_u64_e64 s[0:1], s[0:1], v[3:4]
	v_sub_u32_e32 v10, v8, v5
                                        ; implicit-def: $vgpr5
                                        ; implicit-def: $vgpr8_vgpr9
	s_and_saveexec_b64 s[2:3], s[0:1]
	s_xor_b64 s[0:1], exec, s[2:3]
; %bb.9:
	s_mov_b32 s2, 0xba2e8bb
	v_mul_hi_u32 v5, v0, s2
	v_mov_b32_e32 v6, 0
	v_mul_u32_u24_e32 v5, 22, v5
	v_sub_u32_e32 v5, v0, v5
	v_mov_b32_e32 v9, v6
	v_mov_b32_e32 v8, v5
                                        ; implicit-def: $vgpr0
                                        ; implicit-def: $vgpr6_vgpr7
; %bb.10:
	s_or_saveexec_b64 s[2:3], s[0:1]
	s_load_dwordx2 s[4:5], s[4:5], 0x0
	v_mul_u32_u24_e32 v13, 0x9b, v10
	v_lshlrev_b32_e32 v23, 2, v13
	s_xor_b64 exec, exec, s[2:3]
	s_cbranch_execz .LBB0_14
; %bb.11:
	s_add_u32 s0, s16, s6
	s_addc_u32 s1, s17, s7
	s_load_dwordx2 s[0:1], s[0:1], 0x0
	s_mov_b32 s6, 0xba2e8bb
	v_mul_hi_u32 v5, v0, s6
	v_lshlrev_b64 v[6:7], 2, v[6:7]
	s_waitcnt lgkmcnt(0)
	v_mul_lo_u32 v10, s1, v3
	v_mul_lo_u32 v11, s0, v4
	v_mad_u64_u32 v[8:9], s[0:1], s0, v3, 0
	v_mul_u32_u24_e32 v5, 22, v5
	v_sub_u32_e32 v5, v0, v5
	v_add3_u32 v9, v9, v11, v10
	v_lshlrev_b64 v[8:9], 2, v[8:9]
	v_mov_b32_e32 v0, s9
	v_add_co_u32_e64 v8, s[0:1], s8, v8
	v_addc_co_u32_e64 v0, s[0:1], v0, v9, s[0:1]
	v_add_co_u32_e64 v10, s[0:1], v8, v6
	v_addc_co_u32_e64 v11, s[0:1], v0, v7, s[0:1]
	v_lshlrev_b32_e32 v0, 2, v5
	v_add_co_u32_e64 v6, s[0:1], v10, v0
	v_addc_co_u32_e64 v7, s[0:1], 0, v11, s[0:1]
	global_load_dword v8, v[6:7], off
	global_load_dword v9, v[6:7], off offset:88
	global_load_dword v12, v[6:7], off offset:176
	;; [unrolled: 1-line block ×6, first 2 shown]
	v_mov_b32_e32 v6, 0
	v_add3_u32 v0, 0, v23, v0
	v_cmp_eq_u32_e64 s[0:1], 21, v5
	s_waitcnt vmcnt(5)
	ds_write2_b32 v0, v8, v9 offset1:22
	s_waitcnt vmcnt(3)
	ds_write2_b32 v0, v12, v14 offset0:44 offset1:66
	s_waitcnt vmcnt(1)
	ds_write2_b32 v0, v15, v16 offset0:88 offset1:110
	s_waitcnt vmcnt(0)
	ds_write_b32 v0, v17 offset:528
	v_mov_b32_e32 v9, v6
	v_mov_b32_e32 v8, v5
	s_and_saveexec_b64 s[6:7], s[0:1]
	s_cbranch_execz .LBB0_13
; %bb.12:
	global_load_dword v5, v[10:11], off offset:616
	v_mov_b32_e32 v8, 21
	v_mov_b32_e32 v9, 0
	s_waitcnt vmcnt(0)
	ds_write_b32 v0, v5 offset:532
	v_mov_b32_e32 v5, 21
.LBB0_13:
	s_or_b64 exec, exec, s[6:7]
.LBB0_14:
	s_or_b64 exec, exec, s[2:3]
	v_lshl_add_u32 v0, v13, 2, 0
	v_lshlrev_b32_e32 v6, 2, v5
	v_add_u32_e32 v24, v0, v6
	s_waitcnt lgkmcnt(0)
	s_barrier
	v_sub_u32_e32 v14, v0, v6
	ds_read_u16 v6, v24
	ds_read_u16 v11, v14 offset:616
	v_lshlrev_b64 v[7:8], 2, v[8:9]
	v_cmp_ne_u32_e64 s[0:1], 0, v5
	s_waitcnt lgkmcnt(0)
	v_add_f16_e32 v10, v11, v6
	v_sub_f16_e32 v6, v6, v11
	s_and_saveexec_b64 s[2:3], s[0:1]
	s_xor_b64 s[2:3], exec, s[2:3]
	s_cbranch_execz .LBB0_16
; %bb.15:
	v_mov_b32_e32 v9, s13
	v_add_co_u32_e64 v11, s[0:1], s12, v7
	v_addc_co_u32_e64 v12, s[0:1], v9, v8, s[0:1]
	global_load_dword v9, v[11:12], off offset:572
	ds_read_u16 v11, v14 offset:618
	ds_read_u16 v12, v24 offset:2
	s_waitcnt lgkmcnt(0)
	v_add_f16_e32 v15, v11, v12
	v_sub_f16_e32 v11, v12, v11
	s_waitcnt vmcnt(0)
	v_lshrrev_b32_e32 v12, 16, v9
	v_fma_f16 v16, v6, v12, v10
	v_fma_f16 v17, v15, v12, v11
	v_fma_f16 v10, -v6, v12, v10
	v_fma_f16 v11, v15, v12, -v11
	v_fma_f16 v12, -v9, v15, v16
	v_fma_f16 v16, v6, v9, v17
	v_fma_f16 v10, v9, v15, v10
	;; [unrolled: 1-line block ×3, first 2 shown]
	v_pack_b32_f16 v9, v12, v16
	v_pack_b32_f16 v6, v10, v6
	ds_write_b32 v24, v9
	ds_write_b32 v14, v6 offset:616
                                        ; implicit-def: $vgpr10
                                        ; implicit-def: $vgpr6
.LBB0_16:
	s_andn2_saveexec_b64 s[0:1], s[2:3]
	s_cbranch_execz .LBB0_18
; %bb.17:
	v_pack_b32_f16 v6, v10, v6
	ds_write_b32 v24, v6
	ds_read_b32 v6, v0 offset:308
	s_mov_b32 s2, 0xc0004000
	s_waitcnt lgkmcnt(0)
	v_pk_mul_f16 v6, v6, s2
	ds_write_b32 v0, v6 offset:308
.LBB0_18:
	s_or_b64 exec, exec, s[0:1]
	v_mov_b32_e32 v6, 0
	s_add_u32 s0, s12, 0x23c
	v_lshlrev_b64 v[9:10], 2, v[5:6]
	s_addc_u32 s1, s13, 0
	v_mov_b32_e32 v6, s1
	v_add_co_u32_e64 v11, s[0:1], s0, v9
	v_addc_co_u32_e64 v12, s[0:1], v6, v10, s[0:1]
	global_load_dword v6, v[11:12], off offset:88
	global_load_dword v15, v[11:12], off offset:176
	ds_read_b32 v16, v24 offset:88
	ds_read_b32 v17, v14 offset:528
	v_cmp_gt_u32_e64 s[0:1], 11, v5
	s_waitcnt lgkmcnt(0)
	v_add_f16_e32 v18, v16, v17
	v_add_f16_sdwa v19, v17, v16 dst_sel:DWORD dst_unused:UNUSED_PAD src0_sel:WORD_1 src1_sel:WORD_1
	v_sub_f16_e32 v20, v16, v17
	v_sub_f16_sdwa v16, v16, v17 dst_sel:DWORD dst_unused:UNUSED_PAD src0_sel:WORD_1 src1_sel:WORD_1
	s_waitcnt vmcnt(1)
	v_lshrrev_b32_e32 v17, 16, v6
	v_fma_f16 v21, v20, v17, v18
	v_fma_f16 v22, v19, v17, v16
	v_fma_f16 v18, -v20, v17, v18
	v_fma_f16 v16, v19, v17, -v16
	v_fma_f16 v17, -v6, v19, v21
	v_fma_f16 v21, v20, v6, v22
	v_fma_f16 v18, v6, v19, v18
	;; [unrolled: 1-line block ×3, first 2 shown]
	v_pack_b32_f16 v16, v17, v21
	v_pack_b32_f16 v6, v18, v6
	ds_write_b32 v24, v16 offset:88
	ds_write_b32 v14, v6 offset:528
	ds_read_b32 v6, v24 offset:176
	ds_read_b32 v16, v14 offset:440
	s_waitcnt vmcnt(0)
	v_lshrrev_b32_e32 v17, 16, v15
	s_waitcnt lgkmcnt(0)
	v_add_f16_e32 v18, v6, v16
	v_add_f16_sdwa v19, v16, v6 dst_sel:DWORD dst_unused:UNUSED_PAD src0_sel:WORD_1 src1_sel:WORD_1
	v_sub_f16_e32 v20, v6, v16
	v_sub_f16_sdwa v6, v6, v16 dst_sel:DWORD dst_unused:UNUSED_PAD src0_sel:WORD_1 src1_sel:WORD_1
	v_fma_f16 v16, v20, v17, v18
	v_fma_f16 v21, v19, v17, v6
	v_fma_f16 v18, -v20, v17, v18
	v_fma_f16 v6, v19, v17, -v6
	v_fma_f16 v16, -v15, v19, v16
	v_fma_f16 v17, v20, v15, v21
	v_fma_f16 v18, v15, v19, v18
	;; [unrolled: 1-line block ×3, first 2 shown]
	v_pack_b32_f16 v15, v16, v17
	v_pack_b32_f16 v6, v18, v6
	ds_write_b32 v24, v15 offset:176
	ds_write_b32 v14, v6 offset:440
	s_and_saveexec_b64 s[2:3], s[0:1]
	s_cbranch_execz .LBB0_20
; %bb.19:
	global_load_dword v6, v[11:12], off offset:264
	ds_read_b32 v11, v24 offset:264
	ds_read_b32 v12, v14 offset:352
	s_waitcnt lgkmcnt(0)
	v_add_f16_e32 v15, v11, v12
	v_add_f16_sdwa v16, v12, v11 dst_sel:DWORD dst_unused:UNUSED_PAD src0_sel:WORD_1 src1_sel:WORD_1
	v_sub_f16_e32 v17, v11, v12
	v_sub_f16_sdwa v11, v11, v12 dst_sel:DWORD dst_unused:UNUSED_PAD src0_sel:WORD_1 src1_sel:WORD_1
	s_waitcnt vmcnt(0)
	v_lshrrev_b32_e32 v12, 16, v6
	v_fma_f16 v18, v17, v12, v15
	v_fma_f16 v19, v16, v12, v11
	v_fma_f16 v15, -v17, v12, v15
	v_fma_f16 v11, v16, v12, -v11
	v_fma_f16 v12, -v6, v16, v18
	v_fma_f16 v18, v17, v6, v19
	v_fma_f16 v15, v6, v16, v15
	;; [unrolled: 1-line block ×3, first 2 shown]
	v_pack_b32_f16 v11, v12, v18
	v_pack_b32_f16 v6, v15, v6
	ds_write_b32 v24, v11 offset:264
	ds_write_b32 v14, v6 offset:352
.LBB0_20:
	s_or_b64 exec, exec, s[2:3]
	v_lshl_add_u32 v6, v5, 2, 0
	v_lshl_add_u32 v25, v13, 2, v6
	s_waitcnt lgkmcnt(0)
	s_barrier
	s_barrier
	ds_read2_b32 v[13:14], v25 offset0:14 offset1:28
	ds_read2_b32 v[15:16], v25 offset0:126 offset1:140
	ds_read_b32 v11, v24
	ds_read2_b32 v[17:18], v25 offset0:42 offset1:56
	s_mov_b32 s8, 0xb93d
	s_mov_b32 s9, 0xb08e
	s_waitcnt lgkmcnt(2)
	v_sub_f16_e32 v39, v13, v16
	v_add_f16_sdwa v29, v16, v13 dst_sel:DWORD dst_unused:UNUSED_PAD src0_sel:WORD_1 src1_sel:WORD_1
	v_mul_f16_e32 v49, 0xba0c, v39
	v_fma_f16 v19, v29, s8, -v49
	s_waitcnt lgkmcnt(1)
	v_add_f16_sdwa v21, v19, v11 dst_sel:DWORD dst_unused:UNUSED_PAD src0_sel:DWORD src1_sel:WORD_1
	ds_read2_b32 v[19:20], v25 offset0:98 offset1:112
	v_sub_f16_sdwa v36, v13, v16 dst_sel:DWORD dst_unused:UNUSED_PAD src0_sel:WORD_1 src1_sel:WORD_1
	v_add_f16_e32 v27, v16, v13
	v_mul_f16_e32 v47, 0xba0c, v36
	v_sub_f16_sdwa v38, v14, v15 dst_sel:DWORD dst_unused:UNUSED_PAD src0_sel:WORD_1 src1_sel:WORD_1
	v_fma_f16 v12, v27, s8, v47
	v_add_f16_e32 v28, v15, v14
	v_sub_f16_e32 v40, v14, v15
	v_mul_f16_e32 v48, 0x3beb, v38
	v_add_f16_e32 v12, v12, v11
	v_add_f16_sdwa v30, v15, v14 dst_sel:DWORD dst_unused:UNUSED_PAD src0_sel:WORD_1 src1_sel:WORD_1
	v_mul_f16_e32 v51, 0x3beb, v40
	v_fma_f16 v22, v28, s9, v48
	s_waitcnt lgkmcnt(0)
	v_sub_f16_sdwa v41, v17, v20 dst_sel:DWORD dst_unused:UNUSED_PAD src0_sel:WORD_1 src1_sel:WORD_1
	v_add_f16_e32 v12, v22, v12
	v_fma_f16 v22, v30, s9, -v51
	s_movk_i32 s14, 0x3abb
	v_add_f16_e32 v31, v20, v17
	v_mul_f16_e32 v50, 0xb853, v41
	v_sub_f16_e32 v43, v17, v20
	v_add_f16_e32 v21, v22, v21
	v_fma_f16 v22, v31, s14, v50
	v_add_f16_sdwa v33, v20, v17 dst_sel:DWORD dst_unused:UNUSED_PAD src0_sel:WORD_1 src1_sel:WORD_1
	v_mul_f16_e32 v53, 0xb853, v43
	v_sub_f16_sdwa v42, v18, v19 dst_sel:DWORD dst_unused:UNUSED_PAD src0_sel:WORD_1 src1_sel:WORD_1
	v_add_f16_e32 v12, v22, v12
	v_fma_f16 v22, v33, s14, -v53
	s_mov_b32 s15, 0xbbad
	v_add_f16_e32 v32, v19, v18
	v_mul_f16_e32 v52, 0xb482, v42
	v_add_f16_e32 v26, v22, v21
	v_fma_f16 v21, v32, s15, v52
	v_add_f16_e32 v12, v21, v12
	ds_read2_b32 v[21:22], v25 offset0:70 offset1:84
	v_sub_f16_e32 v44, v18, v19
	v_add_f16_sdwa v34, v19, v18 dst_sel:DWORD dst_unused:UNUSED_PAD src0_sel:WORD_1 src1_sel:WORD_1
	v_mul_f16_e32 v55, 0xb482, v44
	v_fma_f16 v35, v34, s15, -v55
	s_waitcnt lgkmcnt(0)
	v_sub_f16_e32 v46, v21, v22
	s_movk_i32 s16, 0x36a6
	v_add_f16_sdwa v37, v22, v21 dst_sel:DWORD dst_unused:UNUSED_PAD src0_sel:WORD_1 src1_sel:WORD_1
	v_mul_f16_e32 v56, 0x3b47, v46
	v_add_f16_e32 v26, v35, v26
	v_fma_f16 v35, v37, s16, -v56
	v_sub_f16_sdwa v45, v21, v22 dst_sel:DWORD dst_unused:UNUSED_PAD src0_sel:WORD_1 src1_sel:WORD_1
	v_add_f16_e32 v26, v35, v26
	v_add_f16_e32 v35, v22, v21
	v_mul_f16_e32 v54, 0x3b47, v45
	v_fma_f16 v57, v35, s16, v54
	v_add_f16_e32 v12, v57, v12
	v_cmp_gt_u32_e64 s[2:3], 14, v5
	s_barrier
	s_and_saveexec_b64 s[6:7], s[2:3]
	s_cbranch_execz .LBB0_22
; %bb.21:
	s_mov_b32 s2, 0x5040100
	v_perm_b32 v58, v36, v29, s2
	s_mov_b32 s3, 0xb482bbad
	v_pk_mul_f16 v58, v58, s3
	v_perm_b32 v59, v27, v39, s2
	s_mov_b32 s3, 0xbbadb482
	v_perm_b32 v61, v38, v30, s2
	s_mov_b32 s17, 0x38533abb
	v_alignbit_b32 v57, v11, v11, 16
	v_pk_fma_f16 v60, v59, s3, v58 neg_lo:[1,0,0] neg_hi:[1,0,0]
	v_pk_mul_f16 v61, v61, s17
	v_perm_b32 v62, v28, v40, s2
	s_mov_b32 s17, 0x3abb3853
	v_pk_add_f16 v60, v60, v57
	v_pk_fma_f16 v63, v62, s17, v61 neg_lo:[1,0,0] neg_hi:[1,0,0]
	v_pk_add_f16 v60, v63, v60
	v_perm_b32 v63, v41, v33, s2
	s_mov_b32 s18, 0xba0cb93d
	v_pk_mul_f16 v63, v63, s18
	v_perm_b32 v64, v31, v43, s2
	s_mov_b32 s18, 0xb93dba0c
	v_pk_fma_f16 v65, v64, s18, v63 neg_lo:[1,0,0] neg_hi:[1,0,0]
	v_pk_add_f16 v60, v65, v60
	v_perm_b32 v65, v42, v34, s2
	s_mov_b32 s19, 0x3b4736a6
	v_pk_mul_f16 v65, v65, s19
	v_perm_b32 v66, v32, v44, s2
	s_mov_b32 s19, 0x36a63b47
	;; [unrolled: 7-line block ×3, first 2 shown]
	v_pk_fma_f16 v69, v68, s20, v67 neg_lo:[1,0,0] neg_hi:[1,0,0]
	v_pk_add_f16 v60, v69, v60
	v_pk_fma_f16 v69, v59, s3, v58 neg_lo:[0,0,1] neg_hi:[0,0,1]
	v_pk_add_f16 v69, v69, v57
	;; [unrolled: 2-line block ×6, first 2 shown]
	v_mul_f16_e32 v70, 0xb93d, v29
	v_add_f16_e32 v49, v49, v70
	v_mul_f16_e32 v70, 0xb08e, v30
	v_add_f16_e32 v51, v51, v70
	v_add_f16_sdwa v49, v49, v11 dst_sel:DWORD dst_unused:UNUSED_PAD src0_sel:DWORD src1_sel:WORD_1
	v_add_f16_e32 v49, v51, v49
	v_mul_f16_e32 v51, 0x3abb, v33
	v_add_f16_e32 v51, v53, v51
	v_add_f16_e32 v49, v51, v49
	v_mul_f16_e32 v51, 0xbbad, v34
	v_add_f16_e32 v51, v55, v51
	v_mul_f16_e32 v53, 0xb93d, v27
	;; [unrolled: 2-line block ×4, first 2 shown]
	v_sub_f16_e32 v47, v53, v47
	v_add_f16_e32 v49, v51, v49
	v_mul_f16_e32 v51, 0x3abb, v31
	v_sub_f16_e32 v48, v55, v48
	v_add_f16_e32 v47, v47, v11
	v_mul_f16_e32 v53, 0xbbad, v32
	v_add_f16_e32 v47, v48, v47
	v_sub_f16_e32 v48, v51, v50
	v_mul_f16_e32 v55, 0x36a6, v35
	v_add_f16_e32 v47, v48, v47
	v_sub_f16_e32 v48, v53, v52
	v_add_f16_e32 v47, v48, v47
	v_sub_f16_e32 v48, v55, v54
	v_add_f16_e32 v47, v48, v47
	v_mul_f16_e32 v48, 0xbbeb, v39
	v_fma_f16 v50, v29, s9, v48
	v_mul_f16_e32 v51, 0x3482, v40
	v_add_f16_sdwa v50, v50, v11 dst_sel:DWORD dst_unused:UNUSED_PAD src0_sel:DWORD src1_sel:WORD_1
	v_fma_f16 v52, v30, s15, v51
	v_add_f16_e32 v50, v52, v50
	v_mul_f16_e32 v52, 0x3b47, v43
	v_fma_f16 v53, v33, s16, v52
	v_add_f16_e32 v50, v53, v50
	v_mul_f16_e32 v53, 0xb853, v44
	;; [unrolled: 3-line block ×4, first 2 shown]
	v_fma_f16 v56, v27, s9, -v55
	v_mul_f16_e32 v70, 0x3482, v38
	v_add_f16_e32 v56, v56, v11
	v_fma_f16 v71, v28, s15, -v70
	v_add_f16_e32 v56, v71, v56
	v_mul_f16_e32 v71, 0x3b47, v41
	v_fma_f16 v72, v31, s16, -v71
	v_add_f16_e32 v56, v72, v56
	v_mul_f16_e32 v72, 0xb853, v42
	;; [unrolled: 3-line block ×4, first 2 shown]
	v_fma_f16 v75, v29, s16, v74
	v_mul_f16_e32 v76, 0xba0c, v40
	v_add_f16_sdwa v75, v75, v11 dst_sel:DWORD dst_unused:UNUSED_PAD src0_sel:DWORD src1_sel:WORD_1
	v_fma_f16 v77, v30, s8, v76
	v_add_f16_e32 v75, v77, v75
	v_mul_f16_e32 v77, 0x3482, v43
	v_fma_f16 v78, v33, s15, v77
	v_add_f16_e32 v75, v78, v75
	v_mul_f16_e32 v78, 0x3beb, v44
	v_fma_f16 v79, v34, s9, v78
	v_add_f16_e32 v75, v79, v75
	v_mul_f16_e32 v79, 0x3853, v46
	v_fma_f16 v80, v37, s14, v79
	v_fma_f16 v48, v29, s9, -v48
	v_add_f16_e32 v75, v80, v75
	v_mul_f16_e32 v80, 0xbb47, v36
	v_add_f16_sdwa v48, v48, v11 dst_sel:DWORD dst_unused:UNUSED_PAD src0_sel:DWORD src1_sel:WORD_1
	v_fma_f16 v51, v30, s15, -v51
	v_fma_f16 v81, v27, s16, -v80
	v_mul_f16_e32 v82, 0xba0c, v38
	v_add_f16_e32 v48, v51, v48
	v_fma_f16 v51, v33, s16, -v52
	v_add_f16_e32 v81, v81, v11
	v_fma_f16 v83, v28, s8, -v82
	;; [unrolled: 2-line block ×3, first 2 shown]
	v_add_f16_e32 v81, v83, v81
	v_mul_f16_e32 v83, 0x3482, v41
	v_add_f16_e32 v48, v51, v48
	v_fma_f16 v51, v37, s8, -v54
	v_fma_f16 v84, v31, s15, -v83
	v_add_f16_e32 v48, v51, v48
	v_fma_f16 v51, v27, s9, v55
	v_add_f16_e32 v81, v84, v81
	v_mul_f16_e32 v84, 0x3beb, v42
	v_add_f16_e32 v51, v51, v11
	v_fma_f16 v52, v28, s15, v70
	v_fma_f16 v85, v32, s9, -v84
	v_add_f16_e32 v51, v52, v51
	v_fma_f16 v52, v31, s16, v71
	v_add_f16_e32 v81, v85, v81
	v_mul_f16_e32 v85, 0x3853, v45
	v_add_f16_e32 v51, v52, v51
	v_fma_f16 v52, v32, s14, v72
	v_fma_f16 v86, v35, s14, -v85
	v_mul_f16_e32 v39, 0xb853, v39
	v_add_f16_e32 v51, v52, v51
	v_fma_f16 v52, v35, s8, v73
	v_add_f16_e32 v81, v86, v81
	v_fma_f16 v86, v29, s14, v39
	v_mul_f16_e32 v40, 0xbb47, v40
	v_add_f16_e32 v51, v52, v51
	v_fma_f16 v52, v29, s16, -v74
	v_add_f16_sdwa v86, v86, v11 dst_sel:DWORD dst_unused:UNUSED_PAD src0_sel:DWORD src1_sel:WORD_1
	v_fma_f16 v87, v30, s16, v40
	v_mul_f16_e32 v43, 0xbbeb, v43
	v_add_f16_sdwa v52, v52, v11 dst_sel:DWORD dst_unused:UNUSED_PAD src0_sel:DWORD src1_sel:WORD_1
	v_fma_f16 v53, v30, s8, -v76
	v_add_f16_e32 v86, v87, v86
	v_fma_f16 v87, v33, s9, v43
	v_mul_f16_e32 v44, 0xba0c, v44
	v_add_f16_e32 v52, v53, v52
	v_fma_f16 v53, v33, s15, -v77
	v_add_f16_e32 v86, v87, v86
	v_fma_f16 v87, v34, s8, v44
	v_mul_f16_e32 v46, 0xb482, v46
	v_add_f16_e32 v52, v53, v52
	;; [unrolled: 5-line block ×3, first 2 shown]
	v_fma_f16 v53, v37, s14, -v79
	v_add_f16_e32 v86, v87, v86
	v_fma_f16 v87, v27, s14, -v36
	v_mul_f16_e32 v38, 0xbb47, v38
	v_add_f16_e32 v52, v53, v52
	v_fma_f16 v53, v27, s16, v80
	v_fma_f16 v27, v27, s14, v36
	v_fma_f16 v88, v28, s16, -v38
	v_mul_f16_e32 v41, 0xbbeb, v41
	v_fma_f16 v54, v28, s8, v82
	v_add_f16_e32 v27, v27, v11
	v_fma_f16 v28, v28, s16, v38
	v_mul_f16_e32 v42, 0xba0c, v42
	v_add_f16_e32 v27, v28, v27
	v_fma_f16 v28, v31, s9, v41
	v_mul_f16_e32 v45, 0xb482, v45
	v_add_f16_e32 v27, v28, v27
	v_fma_f16 v28, v32, s8, v42
	v_add_f16_e32 v27, v28, v27
	v_fma_f16 v28, v35, s15, v45
	v_fma_f16 v29, v29, s14, -v39
	v_add_f16_e32 v27, v28, v27
	v_add_f16_sdwa v28, v13, v11 dst_sel:DWORD dst_unused:UNUSED_PAD src0_sel:WORD_1 src1_sel:WORD_1
	v_add_f16_e32 v87, v87, v11
	v_add_f16_e32 v53, v53, v11
	v_add_f16_sdwa v29, v29, v11 dst_sel:DWORD dst_unused:UNUSED_PAD src0_sel:DWORD src1_sel:WORD_1
	v_add_f16_sdwa v28, v28, v14 dst_sel:DWORD dst_unused:UNUSED_PAD src0_sel:DWORD src1_sel:WORD_1
	v_add_f16_e32 v11, v13, v11
	v_add_f16_sdwa v28, v28, v17 dst_sel:DWORD dst_unused:UNUSED_PAD src0_sel:DWORD src1_sel:WORD_1
	v_add_f16_e32 v11, v11, v14
	v_add_f16_sdwa v28, v28, v18 dst_sel:DWORD dst_unused:UNUSED_PAD src0_sel:DWORD src1_sel:WORD_1
	v_add_f16_e32 v11, v11, v17
	v_add_f16_sdwa v28, v28, v21 dst_sel:DWORD dst_unused:UNUSED_PAD src0_sel:DWORD src1_sel:WORD_1
	v_add_f16_e32 v11, v11, v18
	v_add_f16_sdwa v28, v28, v22 dst_sel:DWORD dst_unused:UNUSED_PAD src0_sel:DWORD src1_sel:WORD_1
	v_add_f16_e32 v11, v11, v21
	v_add_f16_sdwa v28, v28, v19 dst_sel:DWORD dst_unused:UNUSED_PAD src0_sel:DWORD src1_sel:WORD_1
	v_add_f16_e32 v11, v11, v22
	v_add_f16_sdwa v28, v28, v20 dst_sel:DWORD dst_unused:UNUSED_PAD src0_sel:DWORD src1_sel:WORD_1
	v_add_f16_e32 v11, v11, v19
	v_add_f16_e32 v87, v88, v87
	v_fma_f16 v88, v31, s9, -v41
	v_add_f16_sdwa v28, v28, v15 dst_sel:DWORD dst_unused:UNUSED_PAD src0_sel:DWORD src1_sel:WORD_1
	v_add_f16_e32 v11, v11, v20
	v_add_f16_e32 v87, v88, v87
	v_fma_f16 v88, v32, s8, -v42
	v_add_f16_sdwa v28, v28, v16 dst_sel:DWORD dst_unused:UNUSED_PAD src0_sel:DWORD src1_sel:WORD_1
	v_add_f16_e32 v11, v11, v15
	v_add_f16_e32 v87, v88, v87
	v_fma_f16 v88, v35, s15, -v45
	v_lshlrev_b32_e32 v28, 16, v28
	v_add_f16_e32 v11, v11, v16
	v_mul_u32_u24_e32 v13, 40, v5
	v_add_f16_e32 v87, v88, v87
	v_or_b32_e32 v11, v28, v11
	v_add3_u32 v6, v6, v13, v23
	ds_write_b32 v6, v11
	v_pack_b32_f16 v11, v81, v75
	v_pack_b32_f16 v13, v87, v86
	ds_write2_b32 v6, v13, v11 offset0:1 offset1:2
	v_pack_b32_f16 v11, v47, v49
	v_pack_b32_f16 v13, v56, v50
	ds_write2_b32 v6, v13, v11 offset0:3 offset1:4
	v_pk_fma_f16 v11, v59, s3, v58
	v_pk_add_f16 v11, v11, v57
	v_pk_fma_f16 v13, v62, s17, v61
	v_pk_add_f16 v11, v13, v11
	v_pk_fma_f16 v13, v64, s18, v63
	v_fma_f16 v30, v30, s16, -v40
	v_pk_add_f16 v11, v13, v11
	v_pk_fma_f16 v13, v66, s19, v65
	v_add_f16_e32 v53, v54, v53
	v_fma_f16 v54, v31, s15, v83
	v_add_f16_e32 v29, v30, v29
	v_fma_f16 v30, v33, s9, -v43
	v_pk_add_f16 v11, v13, v11
	v_pk_fma_f16 v13, v68, s20, v67
	v_add_f16_e32 v53, v54, v53
	v_fma_f16 v54, v32, s9, v84
	v_add_f16_e32 v29, v30, v29
	v_fma_f16 v30, v34, s8, -v44
	v_pk_add_f16 v11, v13, v11
	v_add_f16_e32 v53, v54, v53
	v_fma_f16 v54, v35, s14, v85
	v_add_f16_e32 v29, v30, v29
	v_fma_f16 v30, v37, s15, -v46
	v_alignbit_b32 v13, v60, v11, 16
	v_alignbit_b32 v11, v11, v69, 16
	v_add_f16_e32 v53, v54, v53
	v_add_f16_e32 v29, v30, v29
	ds_write2_b32 v6, v11, v13 offset0:5 offset1:6
	v_pack_b32_f16 v11, v51, v48
	v_perm_b32 v13, v26, v12, s2
	ds_write2_b32 v6, v13, v11 offset0:7 offset1:8
	v_pack_b32_f16 v11, v27, v29
	v_pack_b32_f16 v13, v53, v52
	ds_write2_b32 v6, v13, v11 offset0:9 offset1:10
.LBB0_22:
	s_or_b64 exec, exec, s[6:7]
	v_add_u32_e32 v6, -11, v5
	v_cndmask_b32_e64 v29, v6, v5, s[0:1]
	v_mul_i32_i24_e32 v13, 6, v29
	v_mov_b32_e32 v14, 0
	v_lshlrev_b64 v[13:14], 2, v[13:14]
	v_mov_b32_e32 v11, s13
	v_add_co_u32_e64 v17, s[2:3], s12, v13
	v_addc_co_u32_e64 v18, s[2:3], v11, v14, s[2:3]
	s_waitcnt lgkmcnt(0)
	s_barrier
	global_load_dwordx4 v[13:16], v[17:18], off
	global_load_dwordx2 v[19:20], v[17:18], off offset:16
	ds_read_b32 v11, v24
	ds_read2_b32 v[17:18], v25 offset0:22 offset1:44
	ds_read2_b32 v[21:22], v25 offset0:66 offset1:88
	ds_read2_b32 v[27:28], v25 offset0:110 offset1:132
	s_movk_i32 s2, 0x2b26
	s_mov_b32 s6, 0xbcab
	s_waitcnt lgkmcnt(2)
	v_lshrrev_b32_e32 v30, 16, v17
	v_lshrrev_b32_e32 v31, 16, v18
	s_waitcnt lgkmcnt(0)
	v_lshrrev_b32_e32 v34, 16, v27
	v_lshrrev_b32_e32 v35, 16, v28
	;; [unrolled: 1-line block ×4, first 2 shown]
	s_movk_i32 s3, 0x3b00
	s_waitcnt vmcnt(0)
	s_barrier
	v_mul_f16_sdwa v36, v13, v30 dst_sel:DWORD dst_unused:UNUSED_PAD src0_sel:WORD_1 src1_sel:DWORD
	v_mul_f16_sdwa v37, v13, v17 dst_sel:DWORD dst_unused:UNUSED_PAD src0_sel:WORD_1 src1_sel:DWORD
	;; [unrolled: 1-line block ×12, first 2 shown]
	v_fma_f16 v17, v13, v17, -v36
	v_fma_f16 v13, v13, v30, v37
	v_fma_f16 v18, v14, v18, -v38
	v_fma_f16 v14, v14, v31, v39
	;; [unrolled: 2-line block ×6, first 2 shown]
	v_add_f16_e32 v30, v17, v28
	v_add_f16_e32 v31, v13, v20
	v_sub_f16_e32 v17, v17, v28
	v_sub_f16_e32 v13, v13, v20
	v_add_f16_e32 v20, v18, v27
	v_add_f16_e32 v28, v14, v19
	v_sub_f16_e32 v18, v18, v27
	v_sub_f16_e32 v14, v14, v19
	;; [unrolled: 4-line block ×4, first 2 shown]
	v_sub_f16_e32 v30, v30, v19
	v_sub_f16_e32 v31, v31, v27
	v_sub_f16_e32 v20, v19, v20
	v_add_f16_e32 v35, v15, v14
	v_sub_f16_e32 v37, v15, v14
	v_add_f16_e32 v16, v19, v16
	v_add_f16_e32 v19, v27, v22
	v_sub_f16_e32 v28, v27, v28
	v_sub_f16_e32 v15, v13, v15
	;; [unrolled: 1-line block ×3, first 2 shown]
	v_add_f16_e32 v13, v35, v13
	v_mul_f16_e32 v22, 0x3a52, v30
	v_mul_f16_e32 v27, 0x3a52, v31
	;; [unrolled: 1-line block ×3, first 2 shown]
	v_add_f16_e32 v37, v16, v11
	v_add_f16_sdwa v11, v19, v11 dst_sel:DWORD dst_unused:UNUSED_PAD src0_sel:DWORD src1_sel:WORD_1
	v_mul_f16_e32 v30, 0x2b26, v20
	v_mul_f16_e32 v31, 0x2b26, v28
	v_lshlrev_b32_e32 v38, 16, v11
	v_fma_f16 v11, v19, s6, v11
	v_fma_f16 v19, v20, s2, v22
	;; [unrolled: 1-line block ×3, first 2 shown]
	s_movk_i32 s2, 0x39e0
	v_add_f16_e32 v34, v21, v18
	v_sub_f16_e32 v36, v21, v18
	v_fma_f16 v28, v32, s2, -v30
	v_fma_f16 v30, v33, s2, -v31
	s_mov_b32 s2, 0xb9e0
	v_sub_f16_e32 v21, v17, v21
	v_sub_f16_e32 v18, v18, v17
	v_add_f16_e32 v17, v34, v17
	v_mul_f16_e32 v34, 0xb846, v36
	v_fma_f16 v22, v32, s2, -v22
	v_fma_f16 v27, v33, s2, -v27
	s_movk_i32 s2, 0x3574
	v_mul_f16_e32 v36, 0x3b00, v18
	v_mul_f16_e32 v39, 0x3b00, v14
	v_fma_f16 v31, v21, s2, v34
	v_fma_f16 v32, v15, s2, v35
	s_mov_b32 s2, 0xb574
	v_fma_f16 v16, v16, s6, v37
	v_fma_f16 v18, v18, s3, -v34
	v_fma_f16 v14, v14, s3, -v35
	v_fma_f16 v21, v21, s2, -v36
	v_fma_f16 v15, v15, s2, -v39
	s_movk_i32 s2, 0x370e
	v_add_f16_e32 v19, v19, v16
	v_add_f16_e32 v20, v20, v11
	;; [unrolled: 1-line block ×6, first 2 shown]
	v_fma_f16 v22, v17, s2, v31
	v_fma_f16 v27, v13, s2, v32
	;; [unrolled: 1-line block ×6, first 2 shown]
	v_add_f16_e32 v15, v27, v19
	v_add_f16_e32 v31, v13, v16
	v_sub_f16_e32 v32, v11, v17
	v_sub_f16_e32 v13, v16, v13
	v_add_f16_e32 v16, v17, v11
	v_sub_f16_e32 v11, v19, v27
	v_mov_b32_e32 v19, 0x134
	v_cmp_lt_u32_e64 s[2:3], 10, v5
	v_cndmask_b32_e64 v19, 0, v19, s[2:3]
	v_sub_f16_e32 v21, v20, v22
	v_sub_f16_e32 v33, v28, v14
	v_add_f16_e32 v34, v18, v30
	v_add_f16_e32 v14, v14, v28
	v_sub_f16_e32 v18, v30, v18
	v_add_f16_e32 v17, v22, v20
	v_add_u32_e32 v19, 0, v19
	v_lshlrev_b32_e32 v20, 2, v29
	v_or_b32_e32 v38, v38, v37
	v_add3_u32 v19, v19, v20, v23
	v_pack_b32_f16 v15, v15, v21
	v_pack_b32_f16 v14, v14, v18
	;; [unrolled: 1-line block ×3, first 2 shown]
	ds_write2_b32 v19, v38, v15 offset1:11
	v_pack_b32_f16 v15, v31, v32
	v_pack_b32_f16 v20, v33, v34
	ds_write2_b32 v19, v14, v13 offset0:44 offset1:55
	v_pack_b32_f16 v13, v11, v17
	ds_write2_b32 v19, v15, v20 offset0:22 offset1:33
	ds_write_b32 v19, v13 offset:264
	s_waitcnt lgkmcnt(0)
	s_barrier
	ds_read2_b32 v[15:16], v25 offset0:77 offset1:99
	ds_read2_b32 v[13:14], v25 offset0:22 offset1:44
	ds_read_b32 v18, v24
	ds_read_b32 v19, v25 offset:484
	s_and_saveexec_b64 s[2:3], s[0:1]
	s_cbranch_execz .LBB0_24
; %bb.23:
	ds_read2_b32 v[11:12], v25 offset0:66 offset1:143
	v_add_u32_e32 v6, 0x42, v5
	s_waitcnt lgkmcnt(0)
	v_lshrrev_b32_e32 v17, 16, v11
	v_lshrrev_b32_e32 v26, 16, v12
.LBB0_24:
	s_or_b64 exec, exec, s[2:3]
	v_mov_b32_e32 v20, s13
	v_add_co_u32_e64 v7, s[2:3], s12, v7
	v_addc_co_u32_e64 v8, s[2:3], v20, v8, s[2:3]
	v_add_co_u32_e64 v9, s[2:3], s12, v9
	v_addc_co_u32_e64 v10, s[2:3], v20, v10, s[2:3]
	global_load_dword v20, v[9:10], off offset:352
	global_load_dword v21, v[9:10], off offset:440
	;; [unrolled: 1-line block ×3, first 2 shown]
	s_mov_b32 s2, 0xffff
	s_waitcnt lgkmcnt(1)
	v_lshrrev_b32_e32 v7, 16, v18
	s_waitcnt vmcnt(0) lgkmcnt(0)
	s_barrier
	v_pk_mul_f16 v8, v20, v16 op_sel:[0,1]
	v_pk_mul_f16 v9, v21, v19 op_sel:[0,1]
	;; [unrolled: 1-line block ×3, first 2 shown]
	v_pk_fma_f16 v23, v20, v16, v8 op_sel:[0,0,1] op_sel_hi:[1,1,0] neg_lo:[0,0,1] neg_hi:[0,0,1]
	v_pk_fma_f16 v8, v20, v16, v8 op_sel:[0,0,1] op_sel_hi:[1,0,0]
	v_pk_fma_f16 v16, v21, v19, v9 op_sel:[0,0,1] op_sel_hi:[1,1,0] neg_lo:[0,0,1] neg_hi:[0,0,1]
	v_pk_fma_f16 v9, v21, v19, v9 op_sel:[0,0,1] op_sel_hi:[1,0,0]
	;; [unrolled: 2-line block ×3, first 2 shown]
	v_bfi_b32 v10, s2, v19, v10
	v_pk_add_f16 v10, v18, v10 neg_lo:[0,1] neg_hi:[0,1]
	v_bfi_b32 v9, s2, v16, v9
	v_lshrrev_b32_e32 v16, 16, v10
	v_bfi_b32 v8, s2, v23, v8
	v_fma_f16 v7, v7, 2.0, -v16
	v_pk_add_f16 v8, v13, v8 neg_lo:[0,1] neg_hi:[0,1]
	v_pk_add_f16 v9, v14, v9 neg_lo:[0,1] neg_hi:[0,1]
	v_fma_f16 v15, v18, 2.0, -v10
	v_lshlrev_b32_e32 v7, 16, v7
	v_pk_fma_f16 v13, v13, 2.0, v8 op_sel_hi:[1,0,1] neg_lo:[0,0,1] neg_hi:[0,0,1]
	v_pk_fma_f16 v14, v14, 2.0, v9 op_sel_hi:[1,0,1] neg_lo:[0,0,1] neg_hi:[0,0,1]
	v_or_b32_sdwa v7, v7, v15 dst_sel:DWORD dst_unused:UNUSED_PAD src0_sel:DWORD src1_sel:WORD_0
	ds_write2_b32 v25, v14, v10 offset0:44 offset1:77
	ds_write2_b32 v25, v7, v13 offset1:22
	ds_write2_b32 v25, v8, v9 offset0:99 offset1:121
	s_and_saveexec_b64 s[2:3], s[0:1]
	s_cbranch_execz .LBB0_26
; %bb.25:
	v_mov_b32_e32 v7, 0
	v_lshlrev_b64 v[6:7], 2, v[6:7]
	v_mov_b32_e32 v8, s13
	v_add_co_u32_e64 v6, s[0:1], s12, v6
	v_addc_co_u32_e64 v7, s[0:1], v8, v7, s[0:1]
	global_load_dword v6, v[6:7], off offset:264
	s_waitcnt vmcnt(0)
	v_mul_f16_sdwa v7, v26, v6 dst_sel:DWORD dst_unused:UNUSED_PAD src0_sel:DWORD src1_sel:WORD_1
	v_mul_f16_sdwa v8, v12, v6 dst_sel:DWORD dst_unused:UNUSED_PAD src0_sel:DWORD src1_sel:WORD_1
	v_fma_f16 v7, v12, v6, -v7
	v_fma_f16 v6, v26, v6, v8
	v_sub_f16_e32 v7, v11, v7
	v_sub_f16_e32 v6, v17, v6
	v_fma_f16 v8, v11, 2.0, -v7
	v_fma_f16 v9, v17, 2.0, -v6
	v_pack_b32_f16 v8, v8, v9
	v_pack_b32_f16 v6, v7, v6
	ds_write2_b32 v25, v8, v6 offset0:66 offset1:143
.LBB0_26:
	s_or_b64 exec, exec, s[2:3]
	s_waitcnt lgkmcnt(0)
	s_barrier
	s_and_saveexec_b64 s[0:1], vcc
	s_cbranch_execz .LBB0_28
; %bb.27:
	v_mul_lo_u32 v6, s5, v3
	v_mul_lo_u32 v7, s4, v4
	v_mad_u64_u32 v[3:4], s[0:1], s4, v3, 0
	v_lshl_add_u32 v9, v5, 2, v0
	v_mov_b32_e32 v0, s11
	v_add3_u32 v4, v4, v7, v6
	v_lshlrev_b64 v[3:4], 2, v[3:4]
	v_mov_b32_e32 v6, 0
	v_add_co_u32_e32 v3, vcc, s10, v3
	v_addc_co_u32_e32 v4, vcc, v0, v4, vcc
	v_lshlrev_b64 v[0:1], 2, v[1:2]
	ds_read2_b32 v[7:8], v9 offset1:22
	v_add_co_u32_e32 v10, vcc, v3, v0
	v_addc_co_u32_e32 v4, vcc, v4, v1, vcc
	v_lshlrev_b64 v[0:1], 2, v[5:6]
	ds_read2_b32 v[2:3], v9 offset0:44 offset1:66
	v_add_co_u32_e32 v0, vcc, v10, v0
	v_addc_co_u32_e32 v1, vcc, v4, v1, vcc
	s_waitcnt lgkmcnt(1)
	global_store_dword v[0:1], v7, off
	v_add_u32_e32 v0, 22, v5
	v_mov_b32_e32 v1, v6
	v_lshlrev_b64 v[0:1], 2, v[0:1]
	v_add_co_u32_e32 v0, vcc, v10, v0
	v_addc_co_u32_e32 v1, vcc, v4, v1, vcc
	global_store_dword v[0:1], v8, off
	v_add_u32_e32 v0, 44, v5
	v_mov_b32_e32 v1, v6
	v_lshlrev_b64 v[0:1], 2, v[0:1]
	v_add_co_u32_e32 v0, vcc, v10, v0
	v_addc_co_u32_e32 v1, vcc, v4, v1, vcc
	s_waitcnt lgkmcnt(0)
	global_store_dword v[0:1], v2, off
	v_add_u32_e32 v0, 0x42, v5
	v_mov_b32_e32 v1, v6
	v_lshlrev_b64 v[0:1], 2, v[0:1]
	v_add_co_u32_e32 v0, vcc, v10, v0
	v_addc_co_u32_e32 v1, vcc, v4, v1, vcc
	global_store_dword v[0:1], v3, off
	v_add_u32_e32 v0, 0x58, v5
	v_mov_b32_e32 v1, v6
	ds_read2_b32 v[2:3], v9 offset0:88 offset1:110
	v_lshlrev_b64 v[0:1], 2, v[0:1]
	v_add_co_u32_e32 v0, vcc, v10, v0
	v_addc_co_u32_e32 v1, vcc, v4, v1, vcc
	s_waitcnt lgkmcnt(0)
	global_store_dword v[0:1], v2, off
	v_add_u32_e32 v0, 0x6e, v5
	v_mov_b32_e32 v1, v6
	v_lshlrev_b64 v[0:1], 2, v[0:1]
	v_add_u32_e32 v5, 0x84, v5
	v_add_co_u32_e32 v0, vcc, v10, v0
	v_addc_co_u32_e32 v1, vcc, v4, v1, vcc
	ds_read_b32 v2, v9 offset:528
	global_store_dword v[0:1], v3, off
	v_lshlrev_b64 v[0:1], 2, v[5:6]
	v_add_co_u32_e32 v0, vcc, v10, v0
	v_addc_co_u32_e32 v1, vcc, v4, v1, vcc
	s_waitcnt lgkmcnt(0)
	global_store_dword v[0:1], v2, off
.LBB0_28:
	s_endpgm
	.section	.rodata,"a",@progbits
	.p2align	6, 0x0
	.amdhsa_kernel fft_rtc_fwd_len154_factors_11_7_2_wgs_110_tpt_22_half_op_CI_CI_unitstride_sbrr_C2R_dirReg
		.amdhsa_group_segment_fixed_size 0
		.amdhsa_private_segment_fixed_size 0
		.amdhsa_kernarg_size 104
		.amdhsa_user_sgpr_count 6
		.amdhsa_user_sgpr_private_segment_buffer 1
		.amdhsa_user_sgpr_dispatch_ptr 0
		.amdhsa_user_sgpr_queue_ptr 0
		.amdhsa_user_sgpr_kernarg_segment_ptr 1
		.amdhsa_user_sgpr_dispatch_id 0
		.amdhsa_user_sgpr_flat_scratch_init 0
		.amdhsa_user_sgpr_private_segment_size 0
		.amdhsa_uses_dynamic_stack 0
		.amdhsa_system_sgpr_private_segment_wavefront_offset 0
		.amdhsa_system_sgpr_workgroup_id_x 1
		.amdhsa_system_sgpr_workgroup_id_y 0
		.amdhsa_system_sgpr_workgroup_id_z 0
		.amdhsa_system_sgpr_workgroup_info 0
		.amdhsa_system_vgpr_workitem_id 0
		.amdhsa_next_free_vgpr 89
		.amdhsa_next_free_sgpr 28
		.amdhsa_reserve_vcc 1
		.amdhsa_reserve_flat_scratch 0
		.amdhsa_float_round_mode_32 0
		.amdhsa_float_round_mode_16_64 0
		.amdhsa_float_denorm_mode_32 3
		.amdhsa_float_denorm_mode_16_64 3
		.amdhsa_dx10_clamp 1
		.amdhsa_ieee_mode 1
		.amdhsa_fp16_overflow 0
		.amdhsa_exception_fp_ieee_invalid_op 0
		.amdhsa_exception_fp_denorm_src 0
		.amdhsa_exception_fp_ieee_div_zero 0
		.amdhsa_exception_fp_ieee_overflow 0
		.amdhsa_exception_fp_ieee_underflow 0
		.amdhsa_exception_fp_ieee_inexact 0
		.amdhsa_exception_int_div_zero 0
	.end_amdhsa_kernel
	.text
.Lfunc_end0:
	.size	fft_rtc_fwd_len154_factors_11_7_2_wgs_110_tpt_22_half_op_CI_CI_unitstride_sbrr_C2R_dirReg, .Lfunc_end0-fft_rtc_fwd_len154_factors_11_7_2_wgs_110_tpt_22_half_op_CI_CI_unitstride_sbrr_C2R_dirReg
                                        ; -- End function
	.section	.AMDGPU.csdata,"",@progbits
; Kernel info:
; codeLenInByte = 6564
; NumSgprs: 32
; NumVgprs: 89
; ScratchSize: 0
; MemoryBound: 0
; FloatMode: 240
; IeeeMode: 1
; LDSByteSize: 0 bytes/workgroup (compile time only)
; SGPRBlocks: 3
; VGPRBlocks: 22
; NumSGPRsForWavesPerEU: 32
; NumVGPRsForWavesPerEU: 89
; Occupancy: 2
; WaveLimiterHint : 1
; COMPUTE_PGM_RSRC2:SCRATCH_EN: 0
; COMPUTE_PGM_RSRC2:USER_SGPR: 6
; COMPUTE_PGM_RSRC2:TRAP_HANDLER: 0
; COMPUTE_PGM_RSRC2:TGID_X_EN: 1
; COMPUTE_PGM_RSRC2:TGID_Y_EN: 0
; COMPUTE_PGM_RSRC2:TGID_Z_EN: 0
; COMPUTE_PGM_RSRC2:TIDIG_COMP_CNT: 0
	.type	__hip_cuid_ecc59d95ef930ed2,@object ; @__hip_cuid_ecc59d95ef930ed2
	.section	.bss,"aw",@nobits
	.globl	__hip_cuid_ecc59d95ef930ed2
__hip_cuid_ecc59d95ef930ed2:
	.byte	0                               ; 0x0
	.size	__hip_cuid_ecc59d95ef930ed2, 1

	.ident	"AMD clang version 19.0.0git (https://github.com/RadeonOpenCompute/llvm-project roc-6.4.0 25133 c7fe45cf4b819c5991fe208aaa96edf142730f1d)"
	.section	".note.GNU-stack","",@progbits
	.addrsig
	.addrsig_sym __hip_cuid_ecc59d95ef930ed2
	.amdgpu_metadata
---
amdhsa.kernels:
  - .args:
      - .actual_access:  read_only
        .address_space:  global
        .offset:         0
        .size:           8
        .value_kind:     global_buffer
      - .offset:         8
        .size:           8
        .value_kind:     by_value
      - .actual_access:  read_only
        .address_space:  global
        .offset:         16
        .size:           8
        .value_kind:     global_buffer
      - .actual_access:  read_only
        .address_space:  global
        .offset:         24
        .size:           8
        .value_kind:     global_buffer
      - .actual_access:  read_only
        .address_space:  global
        .offset:         32
        .size:           8
        .value_kind:     global_buffer
      - .offset:         40
        .size:           8
        .value_kind:     by_value
      - .actual_access:  read_only
        .address_space:  global
        .offset:         48
        .size:           8
        .value_kind:     global_buffer
      - .actual_access:  read_only
        .address_space:  global
        .offset:         56
        .size:           8
        .value_kind:     global_buffer
      - .offset:         64
        .size:           4
        .value_kind:     by_value
      - .actual_access:  read_only
        .address_space:  global
        .offset:         72
        .size:           8
        .value_kind:     global_buffer
      - .actual_access:  read_only
        .address_space:  global
        .offset:         80
        .size:           8
        .value_kind:     global_buffer
      - .actual_access:  read_only
        .address_space:  global
        .offset:         88
        .size:           8
        .value_kind:     global_buffer
      - .actual_access:  write_only
        .address_space:  global
        .offset:         96
        .size:           8
        .value_kind:     global_buffer
    .group_segment_fixed_size: 0
    .kernarg_segment_align: 8
    .kernarg_segment_size: 104
    .language:       OpenCL C
    .language_version:
      - 2
      - 0
    .max_flat_workgroup_size: 110
    .name:           fft_rtc_fwd_len154_factors_11_7_2_wgs_110_tpt_22_half_op_CI_CI_unitstride_sbrr_C2R_dirReg
    .private_segment_fixed_size: 0
    .sgpr_count:     32
    .sgpr_spill_count: 0
    .symbol:         fft_rtc_fwd_len154_factors_11_7_2_wgs_110_tpt_22_half_op_CI_CI_unitstride_sbrr_C2R_dirReg.kd
    .uniform_work_group_size: 1
    .uses_dynamic_stack: false
    .vgpr_count:     89
    .vgpr_spill_count: 0
    .wavefront_size: 64
amdhsa.target:   amdgcn-amd-amdhsa--gfx906
amdhsa.version:
  - 1
  - 2
...

	.end_amdgpu_metadata
